;; amdgpu-corpus repo=ROCm/rocFFT kind=compiled arch=gfx1030 opt=O3
	.text
	.amdgcn_target "amdgcn-amd-amdhsa--gfx1030"
	.amdhsa_code_object_version 6
	.protected	fft_rtc_fwd_len1848_factors_3_11_7_4_2_wgs_231_tpt_231_halfLds_dp_ip_CI_sbrr_dirReg ; -- Begin function fft_rtc_fwd_len1848_factors_3_11_7_4_2_wgs_231_tpt_231_halfLds_dp_ip_CI_sbrr_dirReg
	.globl	fft_rtc_fwd_len1848_factors_3_11_7_4_2_wgs_231_tpt_231_halfLds_dp_ip_CI_sbrr_dirReg
	.p2align	8
	.type	fft_rtc_fwd_len1848_factors_3_11_7_4_2_wgs_231_tpt_231_halfLds_dp_ip_CI_sbrr_dirReg,@function
fft_rtc_fwd_len1848_factors_3_11_7_4_2_wgs_231_tpt_231_halfLds_dp_ip_CI_sbrr_dirReg: ; @fft_rtc_fwd_len1848_factors_3_11_7_4_2_wgs_231_tpt_231_halfLds_dp_ip_CI_sbrr_dirReg
; %bb.0:
	s_clause 0x2
	s_load_dwordx2 s[14:15], s[4:5], 0x18
	s_load_dwordx4 s[8:11], s[4:5], 0x0
	s_load_dwordx2 s[12:13], s[4:5], 0x50
	v_mul_u32_u24_e32 v1, 0x11c, v0
	v_mov_b32_e32 v3, 0
	v_add_nc_u32_sdwa v5, s6, v1 dst_sel:DWORD dst_unused:UNUSED_PAD src0_sel:DWORD src1_sel:WORD_1
	v_mov_b32_e32 v1, 0
	v_mov_b32_e32 v6, v3
	v_mov_b32_e32 v2, 0
	s_waitcnt lgkmcnt(0)
	s_load_dwordx2 s[2:3], s[14:15], 0x0
	v_cmp_lt_u64_e64 s0, s[10:11], 2
	s_and_b32 vcc_lo, exec_lo, s0
	s_cbranch_vccnz .LBB0_8
; %bb.1:
	s_load_dwordx2 s[0:1], s[4:5], 0x10
	v_mov_b32_e32 v1, 0
	s_add_u32 s6, s14, 8
	v_mov_b32_e32 v2, 0
	s_addc_u32 s7, s15, 0
	s_mov_b64 s[18:19], 1
	s_waitcnt lgkmcnt(0)
	s_add_u32 s16, s0, 8
	s_addc_u32 s17, s1, 0
.LBB0_2:                                ; =>This Inner Loop Header: Depth=1
	s_load_dwordx2 s[20:21], s[16:17], 0x0
                                        ; implicit-def: $vgpr7_vgpr8
	s_mov_b32 s0, exec_lo
	s_waitcnt lgkmcnt(0)
	v_or_b32_e32 v4, s21, v6
	v_cmpx_ne_u64_e32 0, v[3:4]
	s_xor_b32 s1, exec_lo, s0
	s_cbranch_execz .LBB0_4
; %bb.3:                                ;   in Loop: Header=BB0_2 Depth=1
	v_cvt_f32_u32_e32 v4, s20
	v_cvt_f32_u32_e32 v7, s21
	s_sub_u32 s0, 0, s20
	s_subb_u32 s22, 0, s21
	v_fmac_f32_e32 v4, 0x4f800000, v7
	v_rcp_f32_e32 v4, v4
	v_mul_f32_e32 v4, 0x5f7ffffc, v4
	v_mul_f32_e32 v7, 0x2f800000, v4
	v_trunc_f32_e32 v7, v7
	v_fmac_f32_e32 v4, 0xcf800000, v7
	v_cvt_u32_f32_e32 v7, v7
	v_cvt_u32_f32_e32 v4, v4
	v_mul_lo_u32 v8, s0, v7
	v_mul_hi_u32 v9, s0, v4
	v_mul_lo_u32 v10, s22, v4
	v_add_nc_u32_e32 v8, v9, v8
	v_mul_lo_u32 v9, s0, v4
	v_add_nc_u32_e32 v8, v8, v10
	v_mul_hi_u32 v10, v4, v9
	v_mul_lo_u32 v11, v4, v8
	v_mul_hi_u32 v12, v4, v8
	v_mul_hi_u32 v13, v7, v9
	v_mul_lo_u32 v9, v7, v9
	v_mul_hi_u32 v14, v7, v8
	v_mul_lo_u32 v8, v7, v8
	v_add_co_u32 v10, vcc_lo, v10, v11
	v_add_co_ci_u32_e32 v11, vcc_lo, 0, v12, vcc_lo
	v_add_co_u32 v9, vcc_lo, v10, v9
	v_add_co_ci_u32_e32 v9, vcc_lo, v11, v13, vcc_lo
	v_add_co_ci_u32_e32 v10, vcc_lo, 0, v14, vcc_lo
	v_add_co_u32 v8, vcc_lo, v9, v8
	v_add_co_ci_u32_e32 v9, vcc_lo, 0, v10, vcc_lo
	v_add_co_u32 v4, vcc_lo, v4, v8
	v_add_co_ci_u32_e32 v7, vcc_lo, v7, v9, vcc_lo
	v_mul_hi_u32 v8, s0, v4
	v_mul_lo_u32 v10, s22, v4
	v_mul_lo_u32 v9, s0, v7
	v_add_nc_u32_e32 v8, v8, v9
	v_mul_lo_u32 v9, s0, v4
	v_add_nc_u32_e32 v8, v8, v10
	v_mul_hi_u32 v10, v4, v9
	v_mul_lo_u32 v11, v4, v8
	v_mul_hi_u32 v12, v4, v8
	v_mul_hi_u32 v13, v7, v9
	v_mul_lo_u32 v9, v7, v9
	v_mul_hi_u32 v14, v7, v8
	v_mul_lo_u32 v8, v7, v8
	v_add_co_u32 v10, vcc_lo, v10, v11
	v_add_co_ci_u32_e32 v11, vcc_lo, 0, v12, vcc_lo
	v_add_co_u32 v9, vcc_lo, v10, v9
	v_add_co_ci_u32_e32 v9, vcc_lo, v11, v13, vcc_lo
	v_add_co_ci_u32_e32 v10, vcc_lo, 0, v14, vcc_lo
	v_add_co_u32 v8, vcc_lo, v9, v8
	v_add_co_ci_u32_e32 v9, vcc_lo, 0, v10, vcc_lo
	v_add_co_u32 v4, vcc_lo, v4, v8
	v_add_co_ci_u32_e32 v11, vcc_lo, v7, v9, vcc_lo
	v_mul_hi_u32 v13, v5, v4
	v_mad_u64_u32 v[9:10], null, v6, v4, 0
	v_mad_u64_u32 v[7:8], null, v5, v11, 0
	;; [unrolled: 1-line block ×3, first 2 shown]
	v_add_co_u32 v4, vcc_lo, v13, v7
	v_add_co_ci_u32_e32 v7, vcc_lo, 0, v8, vcc_lo
	v_add_co_u32 v4, vcc_lo, v4, v9
	v_add_co_ci_u32_e32 v4, vcc_lo, v7, v10, vcc_lo
	v_add_co_ci_u32_e32 v7, vcc_lo, 0, v12, vcc_lo
	v_add_co_u32 v4, vcc_lo, v4, v11
	v_add_co_ci_u32_e32 v9, vcc_lo, 0, v7, vcc_lo
	v_mul_lo_u32 v10, s21, v4
	v_mad_u64_u32 v[7:8], null, s20, v4, 0
	v_mul_lo_u32 v11, s20, v9
	v_sub_co_u32 v7, vcc_lo, v5, v7
	v_add3_u32 v8, v8, v11, v10
	v_sub_nc_u32_e32 v10, v6, v8
	v_subrev_co_ci_u32_e64 v10, s0, s21, v10, vcc_lo
	v_add_co_u32 v11, s0, v4, 2
	v_add_co_ci_u32_e64 v12, s0, 0, v9, s0
	v_sub_co_u32 v13, s0, v7, s20
	v_sub_co_ci_u32_e32 v8, vcc_lo, v6, v8, vcc_lo
	v_subrev_co_ci_u32_e64 v10, s0, 0, v10, s0
	v_cmp_le_u32_e32 vcc_lo, s20, v13
	v_cmp_eq_u32_e64 s0, s21, v8
	v_cndmask_b32_e64 v13, 0, -1, vcc_lo
	v_cmp_le_u32_e32 vcc_lo, s21, v10
	v_cndmask_b32_e64 v14, 0, -1, vcc_lo
	v_cmp_le_u32_e32 vcc_lo, s20, v7
	;; [unrolled: 2-line block ×3, first 2 shown]
	v_cndmask_b32_e64 v15, 0, -1, vcc_lo
	v_cmp_eq_u32_e32 vcc_lo, s21, v10
	v_cndmask_b32_e64 v7, v15, v7, s0
	v_cndmask_b32_e32 v10, v14, v13, vcc_lo
	v_add_co_u32 v13, vcc_lo, v4, 1
	v_add_co_ci_u32_e32 v14, vcc_lo, 0, v9, vcc_lo
	v_cmp_ne_u32_e32 vcc_lo, 0, v10
	v_cndmask_b32_e32 v8, v14, v12, vcc_lo
	v_cndmask_b32_e32 v10, v13, v11, vcc_lo
	v_cmp_ne_u32_e32 vcc_lo, 0, v7
	v_cndmask_b32_e32 v8, v9, v8, vcc_lo
	v_cndmask_b32_e32 v7, v4, v10, vcc_lo
.LBB0_4:                                ;   in Loop: Header=BB0_2 Depth=1
	s_andn2_saveexec_b32 s0, s1
	s_cbranch_execz .LBB0_6
; %bb.5:                                ;   in Loop: Header=BB0_2 Depth=1
	v_cvt_f32_u32_e32 v4, s20
	s_sub_i32 s1, 0, s20
	v_rcp_iflag_f32_e32 v4, v4
	v_mul_f32_e32 v4, 0x4f7ffffe, v4
	v_cvt_u32_f32_e32 v4, v4
	v_mul_lo_u32 v7, s1, v4
	v_mul_hi_u32 v7, v4, v7
	v_add_nc_u32_e32 v4, v4, v7
	v_mul_hi_u32 v4, v5, v4
	v_mul_lo_u32 v7, v4, s20
	v_add_nc_u32_e32 v8, 1, v4
	v_sub_nc_u32_e32 v7, v5, v7
	v_subrev_nc_u32_e32 v9, s20, v7
	v_cmp_le_u32_e32 vcc_lo, s20, v7
	v_cndmask_b32_e32 v7, v7, v9, vcc_lo
	v_cndmask_b32_e32 v4, v4, v8, vcc_lo
	v_cmp_le_u32_e32 vcc_lo, s20, v7
	v_add_nc_u32_e32 v8, 1, v4
	v_cndmask_b32_e32 v7, v4, v8, vcc_lo
	v_mov_b32_e32 v8, v3
.LBB0_6:                                ;   in Loop: Header=BB0_2 Depth=1
	s_or_b32 exec_lo, exec_lo, s0
	s_load_dwordx2 s[0:1], s[6:7], 0x0
	v_mul_lo_u32 v4, v8, s20
	v_mul_lo_u32 v11, v7, s21
	v_mad_u64_u32 v[9:10], null, v7, s20, 0
	s_add_u32 s18, s18, 1
	s_addc_u32 s19, s19, 0
	s_add_u32 s6, s6, 8
	s_addc_u32 s7, s7, 0
	;; [unrolled: 2-line block ×3, first 2 shown]
	v_add3_u32 v4, v10, v11, v4
	v_sub_co_u32 v5, vcc_lo, v5, v9
	v_sub_co_ci_u32_e32 v4, vcc_lo, v6, v4, vcc_lo
	s_waitcnt lgkmcnt(0)
	v_mul_lo_u32 v6, s1, v5
	v_mul_lo_u32 v4, s0, v4
	v_mad_u64_u32 v[1:2], null, s0, v5, v[1:2]
	v_cmp_ge_u64_e64 s0, s[18:19], s[10:11]
	s_and_b32 vcc_lo, exec_lo, s0
	v_add3_u32 v2, v6, v2, v4
	s_cbranch_vccnz .LBB0_9
; %bb.7:                                ;   in Loop: Header=BB0_2 Depth=1
	v_mov_b32_e32 v5, v7
	v_mov_b32_e32 v6, v8
	s_branch .LBB0_2
.LBB0_8:
	v_mov_b32_e32 v8, v6
	v_mov_b32_e32 v7, v5
.LBB0_9:
	s_lshl_b64 s[0:1], s[10:11], 3
	v_mul_hi_u32 v3, 0x11bb4a5, v0
	s_add_u32 s0, s14, s0
	s_addc_u32 s1, s15, s1
                                        ; implicit-def: $vgpr60
	s_load_dwordx2 s[0:1], s[0:1], 0x0
	s_load_dwordx2 s[4:5], s[4:5], 0x20
	v_mul_u32_u24_e32 v3, 0xe7, v3
	v_sub_nc_u32_e32 v56, v0, v3
	v_add_nc_u32_e32 v123, 0xe7, v56
	s_waitcnt lgkmcnt(0)
	v_mul_lo_u32 v4, s0, v8
	v_mul_lo_u32 v5, s1, v7
	v_mad_u64_u32 v[1:2], null, s0, v7, v[1:2]
	v_cmp_gt_u64_e32 vcc_lo, s[4:5], v[7:8]
	v_cmp_le_u64_e64 s0, s[4:5], v[7:8]
	v_add3_u32 v2, v5, v2, v4
	s_and_saveexec_b32 s1, s0
	s_xor_b32 s0, exec_lo, s1
; %bb.10:
	v_add_nc_u32_e32 v60, 0xe7, v56
; %bb.11:
	s_or_saveexec_b32 s1, s0
	v_lshlrev_b64 v[58:59], 4, v[1:2]
                                        ; implicit-def: $vgpr30_vgpr31
                                        ; implicit-def: $vgpr2_vgpr3
                                        ; implicit-def: $vgpr26_vgpr27
                                        ; implicit-def: $vgpr50_vgpr51
                                        ; implicit-def: $vgpr46_vgpr47
                                        ; implicit-def: $vgpr54_vgpr55
                                        ; implicit-def: $vgpr42_vgpr43
                                        ; implicit-def: $vgpr38_vgpr39
                                        ; implicit-def: $vgpr34_vgpr35
	s_xor_b32 exec_lo, exec_lo, s1
	s_cbranch_execz .LBB0_15
; %bb.12:
	v_add_nc_u32_e32 v10, 0x268, v56
	v_mad_u64_u32 v[0:1], null, s2, v56, 0
	v_add_nc_u32_e32 v12, 0x4d0, v56
	v_mad_u64_u32 v[8:9], null, s2, v123, 0
	v_mad_u64_u32 v[2:3], null, s2, v10, 0
	;; [unrolled: 1-line block ×3, first 2 shown]
	v_add_nc_u32_e32 v16, 0x34f, v56
	v_add_nc_u32_e32 v17, 0x5b7, v56
	s_mov_b32 s4, exec_lo
                                        ; implicit-def: $vgpr52_vgpr53
                                        ; implicit-def: $vgpr44_vgpr45
                                        ; implicit-def: $vgpr48_vgpr49
	v_mad_u64_u32 v[4:5], null, s3, v56, v[1:2]
	v_mov_b32_e32 v1, v3
	v_mov_b32_e32 v3, v7
	;; [unrolled: 1-line block ×3, first 2 shown]
	v_mad_u64_u32 v[14:15], null, s2, v17, 0
	v_mad_u64_u32 v[10:11], null, s3, v10, v[1:2]
	v_mov_b32_e32 v1, v4
	v_add_co_u32 v4, s0, s12, v58
	v_add_co_ci_u32_e64 v5, s0, s13, v59, s0
	v_lshlrev_b64 v[0:1], 4, v[0:1]
	v_mad_u64_u32 v[11:12], null, s3, v12, v[3:4]
	v_mad_u64_u32 v[12:13], null, s2, v16, 0
	v_mov_b32_e32 v3, v10
	v_mad_u64_u32 v[9:10], null, s3, v123, v[7:8]
	v_add_co_u32 v0, s0, v4, v0
	v_mov_b32_e32 v7, v11
	v_mov_b32_e32 v10, v13
	v_lshlrev_b64 v[2:3], 4, v[2:3]
	v_add_co_ci_u32_e64 v1, s0, v5, v1, s0
	v_lshlrev_b64 v[6:7], 4, v[6:7]
	v_mad_u64_u32 v[10:11], null, s3, v16, v[10:11]
	v_mov_b32_e32 v11, v15
	v_add_co_u32 v2, s0, v4, v2
	v_lshlrev_b64 v[8:9], 4, v[8:9]
	v_add_co_ci_u32_e64 v3, s0, v5, v3, s0
	v_mad_u64_u32 v[15:16], null, s3, v17, v[11:12]
	v_mov_b32_e32 v13, v10
	v_add_co_u32 v6, s0, v4, v6
	v_add_co_ci_u32_e64 v7, s0, v5, v7, s0
	v_lshlrev_b64 v[10:11], 4, v[12:13]
	v_add_co_u32 v8, s0, v4, v8
	v_lshlrev_b64 v[12:13], 4, v[14:15]
	v_add_co_ci_u32_e64 v9, s0, v5, v9, s0
	v_add_co_u32 v10, s0, v4, v10
	v_add_co_ci_u32_e64 v11, s0, v5, v11, s0
	v_add_co_u32 v12, s0, v4, v12
	v_add_co_ci_u32_e64 v13, s0, v5, v13, s0
	s_clause 0x5
	global_load_dwordx4 v[32:35], v[0:1], off
	global_load_dwordx4 v[28:31], v[2:3], off
	;; [unrolled: 1-line block ×6, first 2 shown]
	v_cmpx_gt_u32_e32 0x9a, v56
	s_cbranch_execz .LBB0_14
; %bb.13:
	v_add_nc_u32_e32 v12, 0x1ce, v56
	v_add_nc_u32_e32 v14, 0x436, v56
	;; [unrolled: 1-line block ×3, first 2 shown]
	v_mad_u64_u32 v[6:7], null, s2, v12, 0
	v_mad_u64_u32 v[8:9], null, s2, v14, 0
	;; [unrolled: 1-line block ×6, first 2 shown]
	v_mov_b32_e32 v7, v12
	v_mov_b32_e32 v9, v13
	v_lshlrev_b64 v[6:7], 4, v[6:7]
	v_mov_b32_e32 v11, v14
	v_lshlrev_b64 v[8:9], 4, v[8:9]
	v_add_co_u32 v6, s0, v4, v6
	v_lshlrev_b64 v[10:11], 4, v[10:11]
	v_add_co_ci_u32_e64 v7, s0, v5, v7, s0
	v_add_co_u32 v8, s0, v4, v8
	v_add_co_ci_u32_e64 v9, s0, v5, v9, s0
	v_add_co_u32 v4, s0, v4, v10
	v_add_co_ci_u32_e64 v5, s0, v5, v11, s0
	s_clause 0x2
	global_load_dwordx4 v[48:51], v[6:7], off
	global_load_dwordx4 v[52:55], v[8:9], off
	;; [unrolled: 1-line block ×3, first 2 shown]
.LBB0_14:
	s_or_b32 exec_lo, exec_lo, s4
	v_mov_b32_e32 v60, v123
.LBB0_15:
	s_or_b32 exec_lo, exec_lo, s1
	s_waitcnt vmcnt(3)
	v_add_f64 v[4:5], v[28:29], v[0:1]
	s_waitcnt vmcnt(0)
	v_add_f64 v[6:7], v[24:25], v[40:41]
	v_add_f64 v[8:9], v[44:45], v[52:53]
	;; [unrolled: 1-line block ×3, first 2 shown]
	v_add_f64 v[14:15], v[30:31], -v[2:3]
	v_add_f64 v[12:13], v[40:41], v[36:37]
	v_add_f64 v[16:17], v[48:49], v[52:53]
	v_add_f64 v[22:23], v[42:43], -v[26:27]
	s_mov_b32 s0, 0xe8584caa
	s_mov_b32 s1, 0x3febb67a
	;; [unrolled: 1-line block ×4, first 2 shown]
	v_fma_f64 v[18:19], v[4:5], -0.5, v[32:33]
	v_fma_f64 v[32:33], v[6:7], -0.5, v[36:37]
	v_add_f64 v[36:37], v[54:55], -v[46:47]
	v_fma_f64 v[61:62], v[8:9], -0.5, v[48:49]
	v_add_f64 v[4:5], v[0:1], v[10:11]
	v_add_f64 v[48:49], v[24:25], v[12:13]
	;; [unrolled: 1-line block ×3, first 2 shown]
	v_fma_f64 v[6:7], v[14:15], s[0:1], v[18:19]
	v_fma_f64 v[20:21], v[14:15], s[4:5], v[18:19]
	;; [unrolled: 1-line block ×6, first 2 shown]
	v_mad_u32_u24 v32, v56, 24, 0
	v_cmp_gt_u32_e64 s1, 0x9a, v56
	v_mad_i32_i24 v18, v60, 24, 0
	ds_write2_b64 v32, v[4:5], v[6:7] offset1:1
	ds_write_b64 v32, v[20:21] offset:16
	ds_write2_b64 v18, v[48:49], v[8:9] offset1:1
	ds_write_b64 v18, v[10:11] offset:16
	v_add_nc_u32_e32 v33, 0x2b50, v32
	s_and_saveexec_b32 s0, s1
	s_cbranch_execz .LBB0_17
; %bb.16:
	ds_write2_b64 v33, v[12:13], v[14:15] offset1:1
	ds_write_b64 v32, v[16:17] offset:11104
.LBB0_17:
	s_or_b32 exec_lo, exec_lo, s0
	v_mul_i32_i24_e32 v37, 24, v60
	v_cmp_gt_u32_e64 s0, 0xa8, v56
	v_lshlrev_b32_e32 v36, 4, v56
	s_waitcnt lgkmcnt(0)
	s_barrier
	buffer_gl0_inv
                                        ; implicit-def: $vgpr61_vgpr62
	s_and_saveexec_b32 s4, s0
	s_cbranch_execz .LBB0_19
; %bb.18:
	v_sub_nc_u32_e32 v12, v32, v36
	v_add_nc_u32_e32 v4, 0x1400, v12
	v_add_nc_u32_e32 v5, 0x800, v12
	;; [unrolled: 1-line block ×4, first 2 shown]
	ds_read2_b64 v[8:11], v4 offset0:32 offset1:200
	ds_read2_b64 v[20:23], v5 offset0:80 offset1:248
	ds_read2_b64 v[4:7], v12 offset1:168
	ds_read_b64 v[61:62], v12 offset:13440
	ds_read2_b64 v[12:15], v13 offset0:48 offset1:216
	ds_read2_b64 v[16:19], v16 offset0:64 offset1:232
	s_waitcnt lgkmcnt(4)
	v_mov_b32_e32 v49, v23
	v_mov_b32_e32 v48, v22
.LBB0_19:
	s_or_b32 exec_lo, exec_lo, s4
	v_add_f64 v[22:23], v[30:31], v[2:3]
	v_add_f64 v[63:64], v[26:27], v[42:43]
	;; [unrolled: 1-line block ×4, first 2 shown]
	v_add_f64 v[28:29], v[28:29], -v[0:1]
	v_add_f64 v[42:43], v[42:43], v[38:39]
	v_add_f64 v[54:55], v[50:51], v[54:55]
	v_add_f64 v[24:25], v[40:41], -v[24:25]
	v_add_f64 v[44:45], v[52:53], -v[44:45]
	s_mov_b32 s4, 0xe8584caa
	s_mov_b32 s5, 0xbfebb67a
	;; [unrolled: 1-line block ×4, first 2 shown]
	s_waitcnt lgkmcnt(0)
	s_barrier
	buffer_gl0_inv
	v_fma_f64 v[22:23], v[22:23], -0.5, v[34:35]
	v_fma_f64 v[63:64], v[63:64], -0.5, v[38:39]
	;; [unrolled: 1-line block ×3, first 2 shown]
	v_add_f64 v[0:1], v[2:3], v[30:31]
	v_add_f64 v[40:41], v[26:27], v[42:43]
	;; [unrolled: 1-line block ×3, first 2 shown]
	v_fma_f64 v[2:3], v[28:29], s[4:5], v[22:23]
	v_fma_f64 v[34:35], v[28:29], s[6:7], v[22:23]
	;; [unrolled: 1-line block ×6, first 2 shown]
	v_add_nc_u32_e32 v22, 0, v37
	ds_write2_b64 v32, v[0:1], v[2:3] offset1:1
	ds_write_b64 v32, v[34:35] offset:16
	ds_write2_b64 v22, v[40:41], v[38:39] offset1:1
	ds_write_b64 v22, v[24:25] offset:16
	s_and_saveexec_b32 s4, s1
	s_cbranch_execz .LBB0_21
; %bb.20:
	ds_write2_b64 v33, v[26:27], v[28:29] offset1:1
	ds_write_b64 v32, v[30:31] offset:11104
.LBB0_21:
	s_or_b32 exec_lo, exec_lo, s4
	s_waitcnt lgkmcnt(0)
	s_barrier
	buffer_gl0_inv
                                        ; implicit-def: $vgpr42_vgpr43
	s_and_saveexec_b32 s1, s0
	s_cbranch_execz .LBB0_23
; %bb.22:
	v_sub_nc_u32_e32 v26, v32, v36
	v_add_nc_u32_e32 v0, 0x1400, v26
	v_add_nc_u32_e32 v1, 0x800, v26
	;; [unrolled: 1-line block ×4, first 2 shown]
	ds_read2_b64 v[22:25], v0 offset0:32 offset1:200
	ds_read2_b64 v[34:37], v1 offset0:80 offset1:248
	ds_read2_b64 v[0:3], v26 offset1:168
	ds_read_b64 v[42:43], v26 offset:13440
	ds_read2_b64 v[26:29], v27 offset0:48 offset1:216
	ds_read2_b64 v[30:33], v30 offset0:64 offset1:232
	s_waitcnt lgkmcnt(5)
	v_mov_b32_e32 v39, v23
	s_waitcnt lgkmcnt(4)
	v_mov_b32_e32 v41, v37
	v_mov_b32_e32 v38, v22
	;; [unrolled: 1-line block ×3, first 2 shown]
.LBB0_23:
	s_or_b32 exec_lo, exec_lo, s1
	v_and_b32_e32 v57, 0xff, v56
	v_mov_b32_e32 v23, 10
	s_mov_b32 s22, 0xbb3a28a1
	s_mov_b32 s20, 0x43842ef
	;; [unrolled: 1-line block ×3, first 2 shown]
	v_mul_lo_u16 v22, 0xab, v57
	s_mov_b32 s4, 0xf8bb580b
	s_mov_b32 s15, 0xbfed1bb4
	;; [unrolled: 1-line block ×4, first 2 shown]
	v_lshrrev_b16 v126, 9, v22
	s_mov_b32 s21, 0xbfefac9e
	s_mov_b32 s6, 0x8764f0ba
	;; [unrolled: 1-line block ×4, first 2 shown]
	v_mul_lo_u16 v22, v126, 3
	s_mov_b32 s16, 0x640f44db
	s_mov_b32 s7, 0x3feaeb8c
	;; [unrolled: 1-line block ×4, first 2 shown]
	v_sub_nc_u16 v127, v56, v22
	s_mov_b32 s17, 0xbfc2375f
	s_mov_b32 s27, 0x3fd207e7
	;; [unrolled: 1-line block ×4, first 2 shown]
	v_mul_u32_u24_sdwa v22, v127, v23 dst_sel:DWORD dst_unused:UNUSED_PAD src0_sel:BYTE_0 src1_sel:DWORD
	s_mov_b32 s28, s20
	s_mov_b32 s24, 0x9bcd5057
	;; [unrolled: 1-line block ×3, first 2 shown]
	v_lshlrev_b32_e32 v22, 4, v22
	s_clause 0x9
	global_load_dwordx4 v[44:47], v22, s[8:9] offset:144
	global_load_dwordx4 v[50:53], v22, s[8:9]
	global_load_dwordx4 v[63:66], v22, s[8:9] offset:16
	global_load_dwordx4 v[69:72], v22, s[8:9] offset:128
	;; [unrolled: 1-line block ×8, first 2 shown]
	s_waitcnt vmcnt(0) lgkmcnt(0)
	s_barrier
	buffer_gl0_inv
	v_mul_f64 v[22:23], v[61:62], v[46:47]
	v_mul_f64 v[36:37], v[6:7], v[52:53]
	;; [unrolled: 1-line block ×9, first 2 shown]
	v_fma_f64 v[22:23], v[42:43], v[44:45], v[22:23]
	v_fma_f64 v[36:37], v[2:3], v[50:51], v[36:37]
	v_mul_f64 v[2:3], v[16:17], v[83:84]
	v_fma_f64 v[34:35], v[34:35], v[63:64], v[54:55]
	v_fma_f64 v[32:33], v[32:33], v[69:70], v[67:68]
	v_fma_f64 v[71:72], v[61:62], v[44:45], -v[46:47]
	v_fma_f64 v[73:74], v[6:7], v[50:51], -v[52:53]
	v_mul_f64 v[6:7], v[14:15], v[91:92]
	v_mul_f64 v[50:51], v[30:31], v[83:84]
	;; [unrolled: 1-line block ×4, first 2 shown]
	v_fma_f64 v[46:47], v[40:41], v[85:86], v[75:76]
	v_fma_f64 v[67:68], v[20:21], v[63:64], -v[65:66]
	v_fma_f64 v[69:70], v[18:19], v[69:70], -v[77:78]
	v_mul_f64 v[61:62], v[12:13], v[103:104]
	v_mul_f64 v[91:92], v[28:29], v[91:92]
	;; [unrolled: 1-line block ×4, first 2 shown]
	v_add_f64 v[42:43], v[36:37], -v[22:23]
	v_fma_f64 v[30:31], v[30:31], v[81:82], v[2:3]
	v_mul_f64 v[2:3], v[10:11], v[99:100]
	v_add_f64 v[77:78], v[34:35], -v[32:33]
	v_mul_f64 v[99:100], v[24:25], v[99:100]
	v_add_f64 v[40:41], v[73:74], v[71:72]
	v_fma_f64 v[20:21], v[28:29], v[89:90], v[6:7]
	v_fma_f64 v[63:64], v[16:17], v[81:82], -v[50:51]
	v_fma_f64 v[65:66], v[48:49], v[85:86], -v[52:53]
	v_fma_f64 v[50:51], v[38:39], v[93:94], v[54:55]
	v_add_f64 v[83:84], v[67:68], v[69:70]
	v_fma_f64 v[28:29], v[26:27], v[101:102], v[61:62]
	v_fma_f64 v[52:53], v[14:15], v[89:90], -v[91:92]
	v_fma_f64 v[54:55], v[8:9], v[93:94], -v[95:96]
	;; [unrolled: 1-line block ×3, first 2 shown]
	v_mul_f64 v[18:19], v[42:43], s[4:5]
	v_mul_f64 v[44:45], v[42:43], s[14:15]
	;; [unrolled: 1-line block ×4, first 2 shown]
	v_add_f64 v[81:82], v[46:47], -v[30:31]
	v_mul_f64 v[16:17], v[77:78], s[14:15]
	v_mul_f64 v[38:39], v[77:78], s[22:23]
	;; [unrolled: 1-line block ×4, first 2 shown]
	s_mov_b32 s15, 0x3fed1bb4
	v_fma_f64 v[48:49], v[24:25], v[97:98], v[2:3]
	v_add_f64 v[14:15], v[65:66], v[63:64]
	v_add_f64 v[91:92], v[50:51], -v[20:21]
	v_fma_f64 v[61:62], v[10:11], v[97:98], -v[99:100]
	v_add_f64 v[26:27], v[54:55], v[52:53]
	v_fma_f64 v[6:7], v[40:41], s[6:7], v[18:19]
	v_fma_f64 v[105:106], v[40:41], s[10:11], v[44:45]
	;; [unrolled: 1-line block ×4, first 2 shown]
	v_mul_f64 v[24:25], v[81:82], s[20:21]
	v_mul_f64 v[89:90], v[81:82], s[26:27]
	;; [unrolled: 1-line block ×4, first 2 shown]
	v_fma_f64 v[2:3], v[83:84], s[10:11], v[16:17]
	v_fma_f64 v[8:9], v[83:84], s[18:19], v[38:39]
	;; [unrolled: 1-line block ×4, first 2 shown]
	s_mov_b32 s27, 0xbfd207e7
	v_mul_f64 v[97:98], v[91:92], s[22:23]
	v_mul_f64 v[99:100], v[91:92], s[28:29]
	;; [unrolled: 1-line block ×3, first 2 shown]
	s_mov_b32 s5, 0x3fe14ced
	v_add_f64 v[101:102], v[61:62], v[12:13]
	v_add_f64 v[6:7], v[4:5], v[6:7]
	;; [unrolled: 1-line block ×5, first 2 shown]
	v_add_f64 v[105:106], v[48:49], -v[28:29]
	v_mul_f64 v[107:108], v[91:92], s[26:27]
	v_fma_f64 v[10:11], v[14:15], s[16:17], v[24:25]
	v_fma_f64 v[119:120], v[14:15], s[24:25], v[89:90]
	;; [unrolled: 1-line block ×7, first 2 shown]
	v_add_f64 v[2:3], v[2:3], v[6:7]
	v_add_f64 v[6:7], v[8:9], v[115:116]
	;; [unrolled: 1-line block ×4, first 2 shown]
	v_mul_f64 v[111:112], v[105:106], s[22:23]
	v_mul_f64 v[109:110], v[105:106], s[26:27]
	;; [unrolled: 1-line block ×4, first 2 shown]
	v_fma_f64 v[134:135], v[26:27], s[24:25], v[107:108]
	v_add_f64 v[2:3], v[10:11], v[2:3]
	v_add_f64 v[6:7], v[119:120], v[6:7]
	;; [unrolled: 1-line block ×4, first 2 shown]
	v_fma_f64 v[117:118], v[101:102], s[18:19], v[111:112]
	v_fma_f64 v[119:120], v[101:102], s[24:25], v[109:110]
	v_fma_f64 v[121:122], v[101:102], s[6:7], v[113:114]
	v_fma_f64 v[124:125], v[101:102], s[10:11], v[115:116]
	v_add_f64 v[2:3], v[128:129], v[2:3]
	v_add_f64 v[128:129], v[130:131], v[6:7]
	;; [unrolled: 1-line block ×8, first 2 shown]
	s_and_saveexec_b32 s1, s0
	s_cbranch_execz .LBB0_25
; %bb.24:
	v_add_f64 v[117:118], v[4:5], v[73:74]
	v_mul_f64 v[42:43], v[42:43], s[26:27]
	v_mul_f64 v[119:120], v[40:41], s[16:17]
	;; [unrolled: 1-line block ×12, first 2 shown]
	v_add_f64 v[117:118], v[117:118], v[67:68]
	v_fma_f64 v[138:139], v[40:41], s[24:25], v[42:43]
	v_fma_f64 v[40:41], v[40:41], s[24:25], -v[42:43]
	v_add_f64 v[42:43], v[119:120], -v[75:76]
	v_add_f64 v[44:45], v[121:122], -v[44:45]
	;; [unrolled: 1-line block ×4, first 2 shown]
	v_mul_f64 v[119:120], v[14:15], s[24:25]
	v_mul_f64 v[121:122], v[14:15], s[10:11]
	v_fma_f64 v[128:129], v[83:84], s[6:7], v[77:78]
	v_fma_f64 v[77:78], v[83:84], s[6:7], -v[77:78]
	v_add_f64 v[85:86], v[132:133], -v[85:86]
	v_add_f64 v[38:39], v[134:135], -v[38:39]
	v_mul_f64 v[124:125], v[14:15], s[6:7]
	v_add_f64 v[83:84], v[130:131], -v[87:88]
	v_add_f64 v[16:17], v[136:137], -v[16:17]
	v_mul_f64 v[130:131], v[26:27], s[16:17]
	v_mul_f64 v[132:133], v[26:27], s[6:7]
	v_fma_f64 v[136:137], v[14:15], s[18:19], v[81:82]
	v_mul_f64 v[134:135], v[26:27], s[24:25]
	v_add_f64 v[117:118], v[117:118], v[65:66]
	v_add_f64 v[87:88], v[4:5], v[138:139]
	;; [unrolled: 1-line block ×7, first 2 shown]
	v_add_f64 v[89:90], v[119:120], -v[89:90]
	v_add_f64 v[93:94], v[121:122], -v[93:94]
	;; [unrolled: 1-line block ×4, first 2 shown]
	v_add_f64 v[117:118], v[117:118], v[54:55]
	v_add_f64 v[87:88], v[128:129], v[87:88]
	;; [unrolled: 1-line block ×7, first 2 shown]
	v_mul_f64 v[75:76], v[101:102], s[6:7]
	v_mul_f64 v[77:78], v[101:102], s[18:19]
	;; [unrolled: 1-line block ×4, first 2 shown]
	v_add_f64 v[79:80], v[117:118], v[61:62]
	v_mul_f64 v[117:118], v[14:15], s[16:17]
	v_fma_f64 v[14:15], v[14:15], s[18:19], -v[81:82]
	v_add_f64 v[81:82], v[124:125], -v[95:96]
	v_fma_f64 v[95:96], v[26:27], s[10:11], v[91:92]
	v_add_f64 v[38:39], v[89:90], v[38:39]
	v_add_f64 v[87:88], v[136:137], v[87:88]
	v_add_f64 v[75:76], v[75:76], -v[113:114]
	v_add_f64 v[77:78], v[77:78], -v[111:112]
	v_add_f64 v[18:19], v[79:80], v[12:13]
	v_mul_f64 v[79:80], v[26:27], s[18:19]
	v_add_f64 v[24:25], v[117:118], -v[24:25]
	v_fma_f64 v[26:27], v[26:27], s[10:11], -v[91:92]
	v_add_f64 v[14:15], v[14:15], v[40:41]
	v_add_f64 v[40:41], v[93:94], v[42:43]
	v_add_f64 v[91:92], v[134:135], -v[107:108]
	v_add_f64 v[42:43], v[81:82], v[44:45]
	v_add_f64 v[38:39], v[99:100], v[38:39]
	v_fma_f64 v[44:45], v[101:102], s[16:17], -v[85:86]
	v_add_f64 v[81:82], v[83:84], -v[115:116]
	v_add_f64 v[83:84], v[95:96], v[87:88]
	v_add_f64 v[16:17], v[18:19], v[52:53]
	v_mul_f64 v[18:19], v[101:102], s[24:25]
	v_add_f64 v[79:80], v[79:80], -v[97:98]
	v_add_f64 v[4:5], v[24:25], v[4:5]
	v_add_f64 v[14:15], v[26:27], v[14:15]
	;; [unrolled: 1-line block ×3, first 2 shown]
	v_fma_f64 v[24:25], v[101:102], s[16:17], v[85:86]
	v_add_f64 v[40:41], v[91:92], v[42:43]
	v_add_f64 v[38:39], v[75:76], v[38:39]
	;; [unrolled: 1-line block ×3, first 2 shown]
	v_add_f64 v[18:19], v[18:19], -v[109:110]
	v_add_f64 v[4:5], v[79:80], v[4:5]
	v_add_f64 v[14:15], v[44:45], v[14:15]
	;; [unrolled: 1-line block ×7, first 2 shown]
	v_mov_b32_e32 v18, 0x108
	v_mov_b32_e32 v19, 3
	v_mul_u32_u24_sdwa v18, v126, v18 dst_sel:DWORD dst_unused:UNUSED_PAD src0_sel:WORD_0 src1_sel:DWORD
	v_lshlrev_b32_sdwa v19, v19, v127 dst_sel:DWORD dst_unused:UNUSED_PAD src0_sel:DWORD src1_sel:BYTE_0
	v_add3_u32 v18, 0, v18, v19
	v_add_f64 v[16:17], v[16:17], v[71:72]
	ds_write2_b64 v18, v[10:11], v[8:9] offset0:24 offset1:27
	ds_write2_b64 v18, v[38:39], v[26:27] offset0:6 offset1:9
	;; [unrolled: 1-line block ×4, first 2 shown]
	ds_write2_b64 v18, v[16:17], v[4:5] offset1:3
	ds_write_b64 v18, v[6:7] offset:240
.LBB0_25:
	s_or_b32 exec_lo, exec_lo, s1
	v_lshl_add_u32 v124, v56, 3, 0
	s_waitcnt lgkmcnt(0)
	s_barrier
	buffer_gl0_inv
	v_cmp_gt_u32_e64 s1, 33, v56
	ds_read_b64 v[18:19], v124
	ds_read_b64 v[38:39], v124 offset:2112
	ds_read_b64 v[40:41], v124 offset:4224
	ds_read_b64 v[26:27], v124 offset:6336
	ds_read_b64 v[24:25], v124 offset:8448
	ds_read_b64 v[42:43], v124 offset:10560
	ds_read_b64 v[44:45], v124 offset:12672
	v_lshl_add_u32 v125, v60, 3, 0
                                        ; implicit-def: $vgpr4_vgpr5
                                        ; implicit-def: $vgpr14_vgpr15
                                        ; implicit-def: $vgpr16_vgpr17
	s_and_saveexec_b32 s4, s1
	s_cbranch_execz .LBB0_27
; %bb.26:
	ds_read_b64 v[10:11], v124 offset:3960
	ds_read_b64 v[8:9], v124 offset:6072
	;; [unrolled: 1-line block ×5, first 2 shown]
	ds_read_b64 v[2:3], v125
	ds_read_b64 v[4:5], v124 offset:14520
.LBB0_27:
	s_or_b32 exec_lo, exec_lo, s4
	v_add_f64 v[73:74], v[73:74], -v[71:72]
	s_mov_b32 s10, 0x43842ef
	s_mov_b32 s21, 0xbfe14ced
	;; [unrolled: 1-line block ×6, first 2 shown]
	v_add_f64 v[71:72], v[36:37], v[22:23]
	v_add_f64 v[69:70], v[67:68], -v[69:70]
	s_mov_b32 s16, 0x8764f0ba
	s_mov_b32 s14, 0xd9c712b6
	;; [unrolled: 1-line block ×8, first 2 shown]
	v_add_f64 v[67:68], v[34:35], v[32:33]
	v_add_f64 v[85:86], v[65:66], -v[63:64]
	v_add_f64 v[63:64], v[46:47], v[30:31]
	v_add_f64 v[93:94], v[54:55], -v[52:53]
	v_add_f64 v[99:100], v[61:62], -v[12:13]
	v_mul_f64 v[75:76], v[73:74], s[20:21]
	v_mul_f64 v[77:78], v[73:74], s[6:7]
	v_mul_f64 v[79:80], v[73:74], s[10:11]
	v_mul_f64 v[81:82], v[73:74], s[22:23]
	s_waitcnt lgkmcnt(0)
	s_barrier
	buffer_gl0_inv
	v_mul_f64 v[107:108], v[69:70], s[6:7]
	v_mul_f64 v[109:110], v[69:70], s[22:23]
	;; [unrolled: 1-line block ×4, first 2 shown]
	s_mov_b32 s7, 0x3fed1bb4
	v_mul_f64 v[87:88], v[85:86], s[10:11]
	v_mul_f64 v[89:90], v[85:86], s[26:27]
	;; [unrolled: 1-line block ×4, first 2 shown]
	v_fma_f64 v[65:66], v[71:72], s[16:17], -v[75:76]
	v_fma_f64 v[83:84], v[71:72], s[14:15], -v[77:78]
	;; [unrolled: 1-line block ×4, first 2 shown]
	s_mov_b32 s27, 0xbfd207e7
	v_mul_f64 v[103:104], v[93:94], s[20:21]
	v_mul_f64 v[105:106], v[93:94], s[26:27]
	s_mov_b32 s21, 0x3fe14ced
	v_fma_f64 v[52:53], v[67:68], s[14:15], -v[107:108]
	v_fma_f64 v[54:55], v[67:68], s[18:19], -v[109:110]
	;; [unrolled: 1-line block ×8, first 2 shown]
	v_add_f64 v[119:120], v[0:1], v[65:66]
	v_add_f64 v[83:84], v[0:1], v[83:84]
	;; [unrolled: 1-line block ×5, first 2 shown]
	v_mul_f64 v[95:96], v[93:94], s[22:23]
	v_mul_f64 v[97:98], v[93:94], s[28:29]
	v_add_f64 v[52:53], v[52:53], v[119:120]
	v_add_f64 v[54:55], v[54:55], v[83:84]
	;; [unrolled: 1-line block ×5, first 2 shown]
	v_mul_f64 v[115:116], v[99:100], s[22:23]
	v_mul_f64 v[117:118], v[99:100], s[26:27]
	;; [unrolled: 1-line block ×4, first 2 shown]
	v_fma_f64 v[136:137], v[65:66], s[18:19], -v[95:96]
	v_fma_f64 v[138:139], v[65:66], s[4:5], -v[97:98]
	v_fma_f64 v[140:141], v[65:66], s[16:17], -v[103:104]
	v_fma_f64 v[142:143], v[65:66], s[24:25], -v[105:106]
	v_add_f64 v[12:13], v[12:13], v[52:53]
	v_add_f64 v[52:53], v[61:62], v[54:55]
	v_add_f64 v[54:55], v[132:133], v[134:135]
	v_add_f64 v[61:62], v[130:131], v[128:129]
	v_fma_f64 v[128:129], v[83:84], s[18:19], -v[115:116]
	v_fma_f64 v[130:131], v[83:84], s[24:25], -v[117:118]
	;; [unrolled: 1-line block ×4, first 2 shown]
	v_add_f64 v[12:13], v[136:137], v[12:13]
	v_add_f64 v[136:137], v[138:139], v[52:53]
	;; [unrolled: 1-line block ×8, first 2 shown]
	s_and_saveexec_b32 s28, s0
	s_cbranch_execz .LBB0_29
; %bb.28:
	v_add_f64 v[36:37], v[0:1], v[36:37]
	v_mul_f64 v[128:129], v[71:72], s[4:5]
	v_mul_f64 v[130:131], v[71:72], s[18:19]
	;; [unrolled: 1-line block ×9, first 2 shown]
	v_add_f64 v[34:35], v[36:37], v[34:35]
	v_mul_f64 v[36:37], v[71:72], s[16:17]
	v_add_f64 v[34:35], v[34:35], v[46:47]
	v_mul_f64 v[46:47], v[71:72], s[14:15]
	v_add_f64 v[36:37], v[75:76], v[36:37]
	v_add_f64 v[75:76], v[79:80], v[128:129]
	v_fma_f64 v[79:80], v[71:72], s[24:25], v[73:74]
	v_fma_f64 v[71:72], v[71:72], s[24:25], -v[73:74]
	v_mul_f64 v[73:74], v[63:64], s[24:25]
	v_mul_f64 v[128:129], v[63:64], s[16:17]
	v_add_f64 v[34:35], v[34:35], v[50:51]
	v_mul_f64 v[50:51], v[67:68], s[14:15]
	v_add_f64 v[46:47], v[77:78], v[46:47]
	v_add_f64 v[77:78], v[81:82], v[130:131]
	v_mul_f64 v[81:82], v[63:64], s[14:15]
	v_add_f64 v[36:37], v[0:1], v[36:37]
	v_add_f64 v[73:74], v[89:90], v[73:74]
	v_mul_f64 v[130:131], v[65:66], s[24:25]
	v_fma_f64 v[89:90], v[63:64], s[18:19], v[85:86]
	v_add_f64 v[34:35], v[34:35], v[48:49]
	v_mul_f64 v[48:49], v[63:64], s[4:5]
	v_add_f64 v[50:51], v[107:108], v[50:51]
	v_add_f64 v[107:108], v[109:110], v[132:133]
	;; [unrolled: 1-line block ×4, first 2 shown]
	v_fma_f64 v[113:114], v[67:68], s[16:17], v[69:70]
	v_fma_f64 v[67:68], v[67:68], s[16:17], -v[69:70]
	v_add_f64 v[46:47], v[0:1], v[46:47]
	v_add_f64 v[69:70], v[0:1], v[75:76]
	;; [unrolled: 1-line block ×5, first 2 shown]
	v_mul_f64 v[71:72], v[65:66], s[4:5]
	v_mul_f64 v[79:80], v[65:66], s[16:17]
	v_add_f64 v[81:82], v[101:102], v[81:82]
	v_fma_f64 v[63:64], v[63:64], s[18:19], -v[85:86]
	v_mul_f64 v[85:86], v[83:84], s[14:15]
	v_add_f64 v[28:29], v[34:35], v[28:29]
	v_mul_f64 v[34:35], v[65:66], s[18:19]
	v_add_f64 v[48:49], v[87:88], v[48:49]
	v_add_f64 v[36:37], v[50:51], v[36:37]
	;; [unrolled: 1-line block ×3, first 2 shown]
	v_mul_f64 v[91:92], v[99:100], s[10:11]
	v_add_f64 v[46:47], v[107:108], v[46:47]
	v_add_f64 v[50:51], v[109:110], v[69:70]
	;; [unrolled: 1-line block ×5, first 2 shown]
	v_mul_f64 v[67:68], v[83:84], s[16:17]
	v_mul_f64 v[77:78], v[83:84], s[18:19]
	v_add_f64 v[71:72], v[97:98], v[71:72]
	v_add_f64 v[79:80], v[103:104], v[79:80]
	v_fma_f64 v[97:98], v[65:66], s[14:15], v[93:94]
	v_fma_f64 v[65:66], v[65:66], s[14:15], -v[93:94]
	v_add_f64 v[20:21], v[28:29], v[20:21]
	v_add_f64 v[34:35], v[95:96], v[34:35]
	v_mul_f64 v[28:29], v[83:84], s[24:25]
	v_add_f64 v[36:37], v[48:49], v[36:37]
	v_add_f64 v[95:96], v[105:106], v[130:131]
	v_add_f64 v[46:47], v[73:74], v[46:47]
	v_add_f64 v[48:49], v[81:82], v[50:51]
	v_add_f64 v[50:51], v[87:88], v[69:70]
	v_add_f64 v[69:70], v[89:90], v[75:76]
	v_add_f64 v[0:1], v[63:64], v[0:1]
	v_fma_f64 v[73:74], v[83:84], s[4:5], v[91:92]
	v_add_f64 v[63:64], v[115:116], v[77:78]
	v_fma_f64 v[75:76], v[83:84], s[4:5], -v[91:92]
	v_add_f64 v[20:21], v[20:21], v[30:31]
	v_add_f64 v[30:31], v[119:120], v[67:68]
	;; [unrolled: 1-line block ×18, first 2 shown]
	v_mov_b32_e32 v22, 0x108
	v_mov_b32_e32 v23, 3
	v_mul_u32_u24_sdwa v22, v126, v22 dst_sel:DWORD dst_unused:UNUSED_PAD src0_sel:WORD_0 src1_sel:DWORD
	v_lshlrev_b32_sdwa v23, v23, v127 dst_sel:DWORD dst_unused:UNUSED_PAD src0_sel:DWORD src1_sel:BYTE_0
	v_add3_u32 v22, 0, v22, v23
	ds_write2_b64 v22, v[61:62], v[54:55] offset0:24 offset1:27
	ds_write2_b64 v22, v[30:31], v[32:33] offset0:6 offset1:9
	;; [unrolled: 1-line block ×4, first 2 shown]
	ds_write2_b64 v22, v[20:21], v[28:29] offset1:3
	ds_write_b64 v22, v[52:53] offset:240
.LBB0_29:
	s_or_b32 exec_lo, exec_lo, s28
	s_waitcnt lgkmcnt(0)
	s_barrier
	buffer_gl0_inv
	ds_read_b64 v[0:1], v124
	ds_read_b64 v[46:47], v124 offset:2112
	ds_read_b64 v[65:66], v124 offset:4224
	;; [unrolled: 1-line block ×6, first 2 shown]
                                        ; implicit-def: $vgpr20_vgpr21
                                        ; implicit-def: $vgpr22_vgpr23
                                        ; implicit-def: $vgpr28_vgpr29
	s_and_saveexec_b32 s0, s1
	s_cbranch_execz .LBB0_31
; %bb.30:
	ds_read_b64 v[61:62], v124 offset:3960
	ds_read_b64 v[54:55], v124 offset:6072
	;; [unrolled: 1-line block ×5, first 2 shown]
	ds_read_b64 v[12:13], v125
	ds_read_b64 v[20:21], v124 offset:14520
.LBB0_31:
	s_or_b32 exec_lo, exec_lo, s0
	v_mul_lo_u16 v30, 0xf9, v57
	v_mov_b32_e32 v31, 6
	s_mov_b32 s4, 0x37e14327
	s_mov_b32 s10, 0xe976ee23
	s_mov_b32 s5, 0x3fe948f6
	v_lshrrev_b16 v57, 13, v30
	s_mov_b32 s11, 0xbfe11646
	s_mov_b32 s6, 0x429ad128
	;; [unrolled: 1-line block ×4, first 2 shown]
	v_mul_lo_u16 v30, v57, 33
	s_mov_b32 s15, 0x3fac98ee
	s_mov_b32 s16, 0xaaaaaaaa
	;; [unrolled: 1-line block ×4, first 2 shown]
	v_sub_nc_u16 v126, v56, v30
	s_mov_b32 s18, 0x5476071b
	s_mov_b32 s23, 0x3fd5d0dc
	s_mov_b32 s19, 0x3fe77f67
	s_mov_b32 s21, 0xbfe77f67
	v_mul_u32_u24_sdwa v30, v126, v31 dst_sel:DWORD dst_unused:UNUSED_PAD src0_sel:BYTE_0 src1_sel:DWORD
	s_mov_b32 s25, 0xbfd5d0dc
	s_mov_b32 s20, s18
	;; [unrolled: 1-line block ×4, first 2 shown]
	v_lshlrev_b32_e32 v30, 4, v30
	s_mov_b32 s27, 0x3fdc38aa
	s_clause 0x5
	global_load_dwordx4 v[69:72], v30, s[8:9] offset:480
	global_load_dwordx4 v[73:76], v30, s[8:9] offset:496
	;; [unrolled: 1-line block ×6, first 2 shown]
	v_mov_b32_e32 v30, 0xf83f
	v_mul_u32_u24_sdwa v30, v60, v30 dst_sel:DWORD dst_unused:UNUSED_PAD src0_sel:WORD_0 src1_sel:DWORD
	v_lshrrev_b32_e32 v30, 21, v30
	v_mul_lo_u16 v30, v30, 33
	v_sub_nc_u16 v30, v60, v30
	v_and_b32_e32 v127, 0xffff, v30
	v_mul_u32_u24_e32 v30, 6, v127
	v_lshlrev_b32_e32 v30, 4, v30
	s_clause 0x5
	global_load_dwordx4 v[93:96], v30, s[8:9] offset:480
	global_load_dwordx4 v[97:100], v30, s[8:9] offset:496
	;; [unrolled: 1-line block ×6, first 2 shown]
	s_waitcnt vmcnt(0) lgkmcnt(0)
	s_barrier
	buffer_gl0_inv
	v_mul_f64 v[30:31], v[46:47], v[71:72]
	v_mul_f64 v[32:33], v[65:66], v[75:76]
	v_mul_f64 v[36:37], v[50:51], v[79:80]
	v_mul_f64 v[117:118], v[67:68], v[83:84]
	v_mul_f64 v[75:76], v[40:41], v[75:76]
	v_mul_f64 v[119:120], v[63:64], v[87:88]
	v_mul_f64 v[87:88], v[26:27], v[87:88]
	v_mul_f64 v[121:122], v[48:49], v[91:92]
	v_mul_f64 v[83:84], v[42:43], v[83:84]
	v_mul_f64 v[91:92], v[24:25], v[91:92]
	v_mul_f64 v[79:80], v[44:45], v[79:80]
	v_mul_f64 v[71:72], v[38:39], v[71:72]
	v_fma_f64 v[30:31], v[38:39], v[69:70], -v[30:31]
	v_fma_f64 v[34:35], v[40:41], v[73:74], -v[32:33]
	;; [unrolled: 1-line block ×4, first 2 shown]
	v_fma_f64 v[38:39], v[65:66], v[73:74], v[75:76]
	v_fma_f64 v[26:27], v[26:27], v[85:86], -v[119:120]
	v_fma_f64 v[40:41], v[63:64], v[85:86], v[87:88]
	v_fma_f64 v[24:25], v[24:25], v[89:90], -v[121:122]
	v_fma_f64 v[44:45], v[67:68], v[81:82], v[83:84]
	v_fma_f64 v[42:43], v[48:49], v[89:90], v[91:92]
	;; [unrolled: 1-line block ×4, first 2 shown]
	v_mul_f64 v[85:86], v[52:53], v[103:104]
	v_mul_f64 v[87:88], v[6:7], v[103:104]
	;; [unrolled: 1-line block ×3, first 2 shown]
	v_add_f64 v[50:51], v[30:31], v[32:33]
	v_add_f64 v[63:64], v[34:35], v[36:37]
	v_mul_f64 v[91:92], v[16:17], v[107:108]
	v_mul_f64 v[103:104], v[20:21], v[115:116]
	;; [unrolled: 1-line block ×3, first 2 shown]
	v_add_f64 v[67:68], v[26:27], v[24:25]
	v_add_f64 v[65:66], v[38:39], -v[44:45]
	v_add_f64 v[69:70], v[42:43], -v[40:41]
	v_add_f64 v[71:72], v[46:47], -v[48:49]
	v_add_f64 v[73:74], v[63:64], v[50:51]
	v_fma_f64 v[28:29], v[28:29], v[105:106], v[91:92]
	v_fma_f64 v[20:21], v[20:21], v[113:114], v[115:116]
	v_add_f64 v[75:76], v[50:51], -v[67:68]
	v_add_f64 v[77:78], v[69:70], -v[65:66]
	;; [unrolled: 1-line block ×3, first 2 shown]
	v_add_f64 v[65:66], v[69:70], v[65:66]
	v_add_f64 v[69:70], v[71:72], -v[69:70]
	v_add_f64 v[73:74], v[67:68], v[73:74]
	v_add_f64 v[67:68], v[67:68], -v[63:64]
	v_mul_f64 v[75:76], v[75:76], s[4:5]
	v_mul_f64 v[77:78], v[77:78], s[10:11]
	;; [unrolled: 1-line block ×3, first 2 shown]
	v_add_f64 v[83:84], v[18:19], v[73:74]
	v_add_f64 v[18:19], v[63:64], -v[50:51]
	v_mul_f64 v[50:51], v[67:68], s[14:15]
	v_add_f64 v[63:64], v[65:66], v[71:72]
	v_fma_f64 v[65:66], v[67:68], s[14:15], v[75:76]
	v_fma_f64 v[67:68], v[69:70], s[22:23], v[77:78]
	v_fma_f64 v[71:72], v[79:80], s[6:7], -v[77:78]
	v_fma_f64 v[69:70], v[69:70], s[24:25], -v[81:82]
	v_mul_f64 v[77:78], v[10:11], v[95:96]
	v_mul_f64 v[79:80], v[54:55], v[99:100]
	;; [unrolled: 1-line block ×4, first 2 shown]
	v_fma_f64 v[73:74], v[73:74], s[16:17], v[83:84]
	v_fma_f64 v[75:76], v[18:19], s[20:21], -v[75:76]
	v_fma_f64 v[18:19], v[18:19], s[18:19], -v[50:51]
	v_mul_f64 v[50:51], v[61:62], v[95:96]
	v_mul_f64 v[95:96], v[22:23], v[111:112]
	v_fma_f64 v[107:108], v[63:64], s[26:27], v[67:68]
	v_fma_f64 v[71:72], v[63:64], s[26:27], v[71:72]
	;; [unrolled: 1-line block ×5, first 2 shown]
	v_fma_f64 v[54:55], v[6:7], v[101:102], -v[85:86]
	v_fma_f64 v[69:70], v[22:23], v[109:110], v[99:100]
	v_fma_f64 v[22:23], v[4:5], v[113:114], -v[103:104]
	v_add_f64 v[117:118], v[65:66], v[73:74]
	v_add_f64 v[75:76], v[75:76], v[73:74]
	v_add_f64 v[73:74], v[18:19], v[73:74]
	v_fma_f64 v[18:19], v[10:11], v[93:94], -v[50:51]
	v_fma_f64 v[50:51], v[8:9], v[97:98], -v[79:80]
	v_fma_f64 v[65:66], v[52:53], v[101:102], v[87:88]
	v_fma_f64 v[52:53], v[16:17], v[105:106], -v[89:90]
	v_fma_f64 v[67:68], v[14:15], v[109:110], -v[95:96]
	v_add_f64 v[4:5], v[107:108], v[117:118]
	v_add_f64 v[6:7], v[111:112], v[75:76]
	v_add_f64 v[8:9], v[73:74], -v[71:72]
	v_add_f64 v[10:11], v[71:72], v[73:74]
	v_add_f64 v[14:15], v[75:76], -v[111:112]
	v_add_f64 v[16:17], v[117:118], -v[107:108]
	v_mov_b32_e32 v71, 0x738
	v_mov_b32_e32 v72, 3
	v_mul_u32_u24_sdwa v57, v57, v71 dst_sel:DWORD dst_unused:UNUSED_PAD src0_sel:WORD_0 src1_sel:DWORD
	v_lshlrev_b32_sdwa v71, v72, v126 dst_sel:DWORD dst_unused:UNUSED_PAD src0_sel:DWORD src1_sel:BYTE_0
	v_add3_u32 v71, 0, v57, v71
	v_lshl_add_u32 v57, v127, 3, 0
	ds_write2_b64 v71, v[83:84], v[4:5] offset1:33
	ds_write2_b64 v71, v[6:7], v[8:9] offset0:66 offset1:99
	ds_write2_b64 v71, v[10:11], v[14:15] offset0:132 offset1:165
	ds_write_b64 v71, v[16:17] offset:1584
	s_and_saveexec_b32 s0, s1
	s_cbranch_execz .LBB0_33
; %bb.32:
	v_add_f64 v[4:5], v[50:51], v[67:68]
	v_add_f64 v[6:7], v[18:19], v[22:23]
	v_add_f64 v[8:9], v[28:29], -v[65:66]
	v_add_f64 v[10:11], v[63:64], -v[69:70]
	v_add_f64 v[14:15], v[54:55], v[52:53]
	v_add_f64 v[16:17], v[61:62], -v[20:21]
	v_add_f64 v[72:73], v[4:5], v[6:7]
	v_add_f64 v[74:75], v[8:9], -v[10:11]
	v_add_f64 v[76:77], v[6:7], -v[14:15]
	;; [unrolled: 1-line block ×3, first 2 shown]
	v_add_f64 v[10:11], v[8:9], v[10:11]
	v_add_f64 v[8:9], v[16:17], -v[8:9]
	v_add_f64 v[72:73], v[14:15], v[72:73]
	v_add_f64 v[14:15], v[14:15], -v[4:5]
	v_add_f64 v[4:5], v[4:5], -v[6:7]
	v_mul_f64 v[6:7], v[74:75], s[10:11]
	v_mul_f64 v[74:75], v[76:77], s[4:5]
	;; [unrolled: 1-line block ×3, first 2 shown]
	v_add_f64 v[10:11], v[10:11], v[16:17]
	v_add_f64 v[2:3], v[2:3], v[72:73]
	v_mul_f64 v[80:81], v[14:15], s[14:15]
	v_fma_f64 v[16:17], v[8:9], s[22:23], v[6:7]
	v_fma_f64 v[14:15], v[14:15], s[14:15], v[74:75]
	v_fma_f64 v[82:83], v[4:5], s[20:21], -v[74:75]
	v_fma_f64 v[8:9], v[8:9], s[24:25], -v[76:77]
	;; [unrolled: 1-line block ×3, first 2 shown]
	v_fma_f64 v[72:73], v[72:73], s[16:17], v[2:3]
	v_fma_f64 v[4:5], v[4:5], s[18:19], -v[80:81]
	v_fma_f64 v[16:17], v[10:11], s[26:27], v[16:17]
	v_fma_f64 v[8:9], v[10:11], s[26:27], v[8:9]
	;; [unrolled: 1-line block ×3, first 2 shown]
	v_add_f64 v[14:15], v[14:15], v[72:73]
	v_add_f64 v[10:11], v[82:83], v[72:73]
	;; [unrolled: 1-line block ×4, first 2 shown]
	v_add_f64 v[72:73], v[10:11], -v[8:9]
	v_add_f64 v[74:75], v[4:5], -v[6:7]
	v_add_f64 v[8:9], v[8:9], v[10:11]
	v_add_f64 v[4:5], v[6:7], v[4:5]
	v_add_f64 v[6:7], v[14:15], -v[16:17]
	v_add_nc_u32_e32 v10, 0x3000, v57
	ds_write2_b64 v10, v[2:3], v[76:77] offset0:81 offset1:114
	ds_write2_b64 v10, v[8:9], v[74:75] offset0:147 offset1:180
	;; [unrolled: 1-line block ×3, first 2 shown]
	ds_write_b64 v57, v[6:7] offset:14520
.LBB0_33:
	s_or_b32 exec_lo, exec_lo, s0
	v_add_f64 v[2:3], v[46:47], v[48:49]
	v_add_f64 v[4:5], v[38:39], v[44:45]
	v_add_f64 v[6:7], v[34:35], -v[36:37]
	v_add_f64 v[8:9], v[40:41], v[42:43]
	v_add_f64 v[10:11], v[24:25], -v[26:27]
	v_add_f64 v[14:15], v[30:31], -v[32:33]
	s_waitcnt lgkmcnt(0)
	s_barrier
	buffer_gl0_inv
	v_add_f64 v[16:17], v[4:5], v[2:3]
	v_add_f64 v[24:25], v[2:3], -v[8:9]
	v_add_f64 v[26:27], v[10:11], -v[6:7]
	;; [unrolled: 1-line block ×3, first 2 shown]
	v_add_f64 v[6:7], v[10:11], v[6:7]
	v_add_f64 v[10:11], v[14:15], -v[10:11]
	v_add_f64 v[16:17], v[8:9], v[16:17]
	v_add_f64 v[8:9], v[8:9], -v[4:5]
	v_mul_f64 v[24:25], v[24:25], s[4:5]
	v_mul_f64 v[26:27], v[26:27], s[10:11]
	;; [unrolled: 1-line block ×3, first 2 shown]
	v_add_f64 v[34:35], v[0:1], v[16:17]
	v_add_f64 v[0:1], v[4:5], -v[2:3]
	v_mul_f64 v[2:3], v[8:9], s[14:15]
	v_add_f64 v[4:5], v[6:7], v[14:15]
	v_fma_f64 v[6:7], v[8:9], s[14:15], v[24:25]
	v_fma_f64 v[8:9], v[10:11], s[22:23], v[26:27]
	v_fma_f64 v[14:15], v[30:31], s[6:7], -v[26:27]
	v_fma_f64 v[10:11], v[10:11], s[24:25], -v[32:33]
	v_add_nc_u32_e32 v26, 0x2b00, v124
	v_fma_f64 v[16:17], v[16:17], s[16:17], v[34:35]
	v_fma_f64 v[24:25], v[0:1], s[20:21], -v[24:25]
	v_fma_f64 v[0:1], v[0:1], s[18:19], -v[2:3]
	v_fma_f64 v[2:3], v[4:5], s[26:27], v[8:9]
	v_fma_f64 v[8:9], v[4:5], s[26:27], v[14:15]
	;; [unrolled: 1-line block ×3, first 2 shown]
	v_add_f64 v[6:7], v[6:7], v[16:17]
	v_add_f64 v[10:11], v[24:25], v[16:17]
	;; [unrolled: 1-line block ×3, first 2 shown]
	v_add_nc_u32_e32 v24, 0xe00, v124
	v_add_nc_u32_e32 v25, 0x1c80, v124
	ds_read_b64 v[14:15], v124
	ds_read_b64 v[16:17], v125
	v_add_f64 v[30:31], v[6:7], -v[2:3]
	v_add_f64 v[32:33], v[10:11], -v[4:5]
	v_add_f64 v[36:37], v[8:9], v[0:1]
	v_add_f64 v[38:39], v[0:1], -v[8:9]
	v_add_f64 v[40:41], v[4:5], v[10:11]
	v_add_f64 v[42:43], v[2:3], v[6:7]
	ds_read2_b64 v[0:3], v24 offset0:14 offset1:245
	ds_read2_b64 v[4:7], v25 offset0:12 offset1:243
	;; [unrolled: 1-line block ×3, first 2 shown]
	s_waitcnt lgkmcnt(0)
	s_barrier
	buffer_gl0_inv
	ds_write2_b64 v71, v[34:35], v[30:31] offset1:33
	ds_write2_b64 v71, v[32:33], v[36:37] offset0:66 offset1:99
	ds_write2_b64 v71, v[38:39], v[40:41] offset0:132 offset1:165
	ds_write_b64 v71, v[42:43] offset:1584
	s_and_saveexec_b32 s0, s1
	s_cbranch_execz .LBB0_35
; %bb.34:
	v_add_f64 v[20:21], v[61:62], v[20:21]
	v_add_f64 v[30:31], v[63:64], v[69:70]
	v_add_f64 v[27:28], v[65:66], v[28:29]
	v_add_f64 v[32:33], v[50:51], -v[67:68]
	v_add_f64 v[34:35], v[52:53], -v[54:55]
	;; [unrolled: 1-line block ×3, first 2 shown]
	s_mov_b32 s6, 0x36b3c0b5
	s_mov_b32 s7, 0x3fac98ee
	;; [unrolled: 1-line block ×6, first 2 shown]
	v_add_f64 v[22:23], v[30:31], v[20:21]
	v_add_f64 v[36:37], v[20:21], -v[27:28]
	v_add_f64 v[38:39], v[27:28], -v[30:31]
	;; [unrolled: 1-line block ×6, first 2 shown]
	v_add_f64 v[22:23], v[27:28], v[22:23]
	v_add_f64 v[27:28], v[34:35], v[32:33]
	v_mul_f64 v[31:32], v[36:37], s[4:5]
	s_mov_b32 s4, 0x429ad128
	v_mul_f64 v[33:34], v[38:39], s[6:7]
	v_mul_f64 v[35:36], v[40:41], s[10:11]
	s_mov_b32 s5, 0x3febfeb5
	s_mov_b32 s10, 0xaaaaaaaa
	v_mul_f64 v[40:41], v[42:43], s[4:5]
	s_mov_b32 s11, 0xbff2aaaa
	v_add_f64 v[12:13], v[12:13], v[22:23]
	v_add_f64 v[18:19], v[27:28], v[18:19]
	v_fma_f64 v[27:28], v[38:39], s[6:7], v[31:32]
	v_fma_f64 v[33:34], v[20:21], s[14:15], -v[33:34]
	s_mov_b32 s15, 0xbfe77f67
	v_fma_f64 v[37:38], v[29:30], s[16:17], v[35:36]
	s_mov_b32 s17, 0xbfd5d0dc
	v_fma_f64 v[35:36], v[42:43], s[4:5], -v[35:36]
	v_fma_f64 v[29:30], v[29:30], s[16:17], -v[40:41]
	;; [unrolled: 1-line block ×3, first 2 shown]
	s_mov_b32 s4, 0x37c3f68c
	s_mov_b32 s5, 0x3fdc38aa
	v_fma_f64 v[22:23], v[22:23], s[10:11], v[12:13]
	v_fma_f64 v[31:32], v[18:19], s[4:5], v[37:38]
	;; [unrolled: 1-line block ×4, first 2 shown]
	v_add_f64 v[27:28], v[27:28], v[22:23]
	v_add_f64 v[20:21], v[20:21], v[22:23]
	v_add_f64 v[22:23], v[33:34], v[22:23]
	v_add_f64 v[29:30], v[27:28], -v[31:32]
	v_add_f64 v[33:34], v[20:21], -v[18:19]
	v_add_f64 v[37:38], v[35:36], v[22:23]
	v_add_f64 v[22:23], v[22:23], -v[35:36]
	v_add_f64 v[18:19], v[18:19], v[20:21]
	v_add_f64 v[20:21], v[31:32], v[27:28]
	v_add_nc_u32_e32 v27, 0x3000, v57
	ds_write2_b64 v27, v[12:13], v[29:30] offset0:81 offset1:114
	ds_write2_b64 v27, v[33:34], v[37:38] offset0:147 offset1:180
	;; [unrolled: 1-line block ×3, first 2 shown]
	ds_write_b64 v57, v[20:21] offset:14520
.LBB0_35:
	s_or_b32 exec_lo, exec_lo, s0
	v_mul_u32_u24_e32 v12, 3, v56
	s_waitcnt lgkmcnt(0)
	s_barrier
	buffer_gl0_inv
	v_lshlrev_b32_e32 v12, 4, v12
	v_add_co_u32 v18, s0, s8, v12
	v_add_co_ci_u32_e64 v19, null, s9, 0, s0
	v_add_co_u32 v12, s0, 0x800, v18
	v_add_co_ci_u32_e64 v13, s0, 0, v19, s0
	v_add_co_u32 v22, s0, 0xe40, v18
	v_add_co_ci_u32_e64 v23, s0, 0, v19, s0
	s_clause 0x2
	global_load_dwordx4 v[18:21], v[12:13], off offset:1600
	global_load_dwordx4 v[27:30], v[22:23], off offset:16
	;; [unrolled: 1-line block ×3, first 2 shown]
	ds_read2_b64 v[35:38], v24 offset0:14 offset1:245
	ds_read2_b64 v[39:42], v25 offset0:12 offset1:243
	;; [unrolled: 1-line block ×3, first 2 shown]
	s_waitcnt vmcnt(2) lgkmcnt(2)
	v_mul_f64 v[12:13], v[35:36], v[20:21]
	s_waitcnt vmcnt(1) lgkmcnt(1)
	v_mul_f64 v[22:23], v[39:40], v[29:30]
	s_waitcnt vmcnt(0) lgkmcnt(0)
	v_mul_f64 v[47:48], v[43:44], v[33:34]
	v_mul_f64 v[49:50], v[37:38], v[20:21]
	v_mul_f64 v[51:52], v[41:42], v[29:30]
	;; [unrolled: 1-line block ×9, first 2 shown]
	v_fma_f64 v[0:1], v[0:1], v[18:19], -v[12:13]
	v_fma_f64 v[4:5], v[4:5], v[27:28], -v[22:23]
	;; [unrolled: 1-line block ×6, first 2 shown]
	v_fma_f64 v[35:36], v[35:36], v[18:19], v[61:62]
	v_fma_f64 v[39:40], v[39:40], v[27:28], v[63:64]
	;; [unrolled: 1-line block ×3, first 2 shown]
	ds_read_b64 v[12:13], v124
	ds_read_b64 v[22:23], v125
	v_fma_f64 v[18:19], v[37:38], v[18:19], v[20:21]
	v_fma_f64 v[20:21], v[41:42], v[27:28], v[29:30]
	;; [unrolled: 1-line block ×3, first 2 shown]
	s_waitcnt lgkmcnt(0)
	s_barrier
	buffer_gl0_inv
	v_add_f64 v[4:5], v[14:15], -v[4:5]
	v_add_f64 v[8:9], v[0:1], -v[8:9]
	;; [unrolled: 1-line block ×8, first 2 shown]
	v_fma_f64 v[14:15], v[14:15], 2.0, -v[4:5]
	v_fma_f64 v[0:1], v[0:1], 2.0, -v[8:9]
	;; [unrolled: 1-line block ×6, first 2 shown]
	v_add_f64 v[31:32], v[4:5], -v[31:32]
	v_add_f64 v[35:36], v[29:30], v[8:9]
	v_fma_f64 v[22:23], v[22:23], 2.0, -v[20:21]
	v_fma_f64 v[18:19], v[18:19], 2.0, -v[27:28]
	v_add_f64 v[27:28], v[6:7], -v[27:28]
	v_add_f64 v[37:38], v[20:21], v[10:11]
	v_add_f64 v[0:1], v[14:15], -v[0:1]
	v_add_f64 v[2:3], v[16:17], -v[2:3]
	;; [unrolled: 1-line block ×3, first 2 shown]
	v_fma_f64 v[4:5], v[4:5], 2.0, -v[31:32]
	v_add_f64 v[18:19], v[22:23], -v[18:19]
	v_fma_f64 v[6:7], v[6:7], 2.0, -v[27:28]
	v_fma_f64 v[20:21], v[20:21], 2.0, -v[37:38]
	;; [unrolled: 1-line block ×5, first 2 shown]
	ds_write2_b64 v24, v[0:1], v[31:32] offset0:14 offset1:245
	ds_write2_b64 v26, v[2:3], v[27:28] offset0:10 offset1:241
	ds_write2_b64 v124, v[8:9], v[4:5] offset1:231
	ds_write2_b64 v25, v[10:11], v[6:7] offset0:12 offset1:243
	v_fma_f64 v[29:30], v[12:13], 2.0, -v[33:34]
	s_waitcnt lgkmcnt(0)
	s_barrier
	buffer_gl0_inv
	ds_read2_b64 v[4:7], v25 offset0:12 offset1:243
	ds_read_b64 v[14:15], v124
	ds_read_b64 v[12:13], v125
	ds_read2_b64 v[0:3], v24 offset0:14 offset1:245
	ds_read2_b64 v[8:11], v26 offset0:10 offset1:241
	v_fma_f64 v[22:23], v[22:23], 2.0, -v[18:19]
	s_waitcnt lgkmcnt(0)
	s_barrier
	buffer_gl0_inv
	ds_write2_b64 v124, v[29:30], v[16:17] offset1:231
	ds_write2_b64 v24, v[33:34], v[35:36] offset0:14 offset1:245
	ds_write2_b64 v25, v[22:23], v[20:21] offset0:12 offset1:243
	;; [unrolled: 1-line block ×3, first 2 shown]
	s_waitcnt lgkmcnt(0)
	s_barrier
	buffer_gl0_inv
	s_and_saveexec_b32 s0, vcc_lo
	s_cbranch_execz .LBB0_37
; %bb.36:
	v_mov_b32_e32 v45, 0
	v_add_nc_u32_e32 v44, 0x2b5, v56
	v_add_nc_u32_e32 v46, 0x1ce, v56
	v_mad_u64_u32 v[51:52], null, s2, v56, 0
	v_mov_b32_e32 v47, v45
	v_lshlrev_b64 v[16:17], 4, v[44:45]
	v_mov_b32_e32 v57, v45
	v_mov_b32_e32 v61, v45
	v_mad_u64_u32 v[53:54], null, s2, v123, 0
	v_lshlrev_b64 v[18:19], 4, v[46:47]
	v_add_co_u32 v16, vcc_lo, s8, v16
	v_add_co_ci_u32_e32 v17, vcc_lo, s9, v17, vcc_lo
	v_lshlrev_b64 v[20:21], 4, v[56:57]
	v_add_co_u32 v16, vcc_lo, 0x3800, v16
	v_add_co_ci_u32_e32 v17, vcc_lo, 0, v17, vcc_lo
	v_add_co_u32 v22, vcc_lo, s8, v18
	v_add_co_ci_u32_e32 v23, vcc_lo, s9, v19, vcc_lo
	v_lshlrev_b64 v[24:25], 4, v[60:61]
	v_add_co_u32 v22, vcc_lo, 0x3800, v22
	v_add_co_ci_u32_e32 v23, vcc_lo, 0, v23, vcc_lo
	v_add_co_u32 v20, vcc_lo, s8, v20
	v_add_co_ci_u32_e32 v21, vcc_lo, s9, v21, vcc_lo
	v_add_co_u32 v26, vcc_lo, s8, v24
	v_add_co_ci_u32_e32 v27, vcc_lo, s9, v25, vcc_lo
	v_add_co_u32 v24, vcc_lo, 0x3800, v20
	v_add_co_ci_u32_e32 v25, vcc_lo, 0, v21, vcc_lo
	v_add_co_u32 v28, vcc_lo, 0x3800, v26
	v_add_co_ci_u32_e32 v29, vcc_lo, 0, v27, vcc_lo
	s_clause 0x3
	global_load_dwordx4 v[16:19], v[16:17], off offset:400
	global_load_dwordx4 v[20:23], v[22:23], off offset:400
	;; [unrolled: 1-line block ×4, first 2 shown]
	v_add_nc_u32_e32 v61, 0x39c, v56
	v_add_nc_u32_e32 v32, 0x2b00, v124
	;; [unrolled: 1-line block ×3, first 2 shown]
	v_lshrrev_b32_e32 v42, 2, v46
	v_lshrrev_b32_e32 v43, 2, v44
	v_mov_b32_e32 v40, v52
	v_mov_b32_e32 v41, v54
	v_add_co_u32 v73, vcc_lo, s12, v58
	v_mad_u64_u32 v[57:58], null, s2, v61, 0
	ds_read_b64 v[47:48], v125
	ds_read_b64 v[49:50], v124
	ds_read2_b64 v[32:35], v32 offset0:10 offset1:241
	ds_read2_b64 v[36:39], v36 offset0:12 offset1:243
	v_add_nc_u32_e32 v62, 0x483, v56
	v_mul_hi_u32 v52, 0x23769481, v42
	v_mul_hi_u32 v63, 0x23769481, v43
	v_mad_u64_u32 v[42:43], null, s3, v56, v[40:41]
	v_add_co_ci_u32_e32 v74, vcc_lo, s13, v59, vcc_lo
	v_mad_u64_u32 v[59:60], null, s2, v62, 0
	v_mov_b32_e32 v40, v58
	v_lshrrev_b32_e32 v58, 5, v63
	v_mad_u64_u32 v[54:55], null, s3, v123, v[41:42]
	v_add_nc_u32_e32 v45, 0xe00, v124
	v_mad_u64_u32 v[55:56], null, s3, v61, v[40:41]
	v_mov_b32_e32 v43, v60
	v_lshrrev_b32_e32 v56, 5, v52
	v_mad_u32_u24 v76, 0x39c, v58, v44
	v_mov_b32_e32 v52, v42
	v_mad_u64_u32 v[60:61], null, s3, v62, v[43:44]
	v_mad_u32_u24 v75, 0x39c, v56, v46
	v_mov_b32_e32 v58, v55
	ds_read2_b64 v[40:43], v45 offset0:14 offset1:245
	v_add_nc_u32_e32 v78, 0x39c, v76
	v_lshlrev_b64 v[44:45], 4, v[51:52]
	v_add_nc_u32_e32 v77, 0x39c, v75
	v_lshlrev_b64 v[51:52], 4, v[53:54]
	v_mad_u64_u32 v[53:54], null, s2, v75, 0
	v_mad_u64_u32 v[67:68], null, s2, v76, 0
	v_mad_u64_u32 v[69:70], null, s2, v77, 0
	v_mad_u64_u32 v[71:72], null, s2, v78, 0
	v_mov_b32_e32 v46, v54
	v_lshlrev_b64 v[57:58], 4, v[57:58]
	v_add_co_u32 v44, vcc_lo, v73, v44
	v_add_co_ci_u32_e32 v45, vcc_lo, v74, v45, vcc_lo
	v_lshlrev_b64 v[59:60], 4, v[59:60]
	s_waitcnt vmcnt(2)
	v_mul_f64 v[61:62], v[8:9], v[22:23]
	v_mul_f64 v[55:56], v[10:11], v[18:19]
	s_waitcnt lgkmcnt(2)
	v_mul_f64 v[18:19], v[34:35], v[18:19]
	v_mul_f64 v[22:23], v[32:33], v[22:23]
	s_waitcnt vmcnt(1)
	v_mul_f64 v[63:64], v[4:5], v[26:27]
	s_waitcnt lgkmcnt(1)
	v_mul_f64 v[26:27], v[36:37], v[26:27]
	s_waitcnt vmcnt(0)
	v_mul_f64 v[65:66], v[6:7], v[30:31]
	v_mul_f64 v[30:31], v[38:39], v[30:31]
	v_fma_f64 v[34:35], v[34:35], v[16:17], v[55:56]
	v_fma_f64 v[10:11], v[10:11], v[16:17], -v[18:19]
	v_fma_f64 v[16:17], v[32:33], v[20:21], v[61:62]
	v_fma_f64 v[8:9], v[8:9], v[20:21], -v[22:23]
	;; [unrolled: 2-line block ×4, first 2 shown]
	v_mov_b32_e32 v4, v68
	v_mov_b32_e32 v5, v70
	;; [unrolled: 1-line block ×3, first 2 shown]
	v_mad_u64_u32 v[26:27], null, s3, v75, v[46:47]
	v_add_co_u32 v36, vcc_lo, v73, v51
	v_mad_u64_u32 v[27:28], null, s3, v76, v[4:5]
	v_mad_u64_u32 v[28:29], null, s3, v77, v[5:6]
	;; [unrolled: 1-line block ×3, first 2 shown]
	v_mov_b32_e32 v54, v26
	s_waitcnt lgkmcnt(0)
	v_add_f64 v[6:7], v[42:43], -v[34:35]
	v_add_f64 v[4:5], v[2:3], -v[10:11]
	;; [unrolled: 1-line block ×8, first 2 shown]
	v_mov_b32_e32 v70, v28
	v_mov_b32_e32 v72, v29
	v_mov_b32_e32 v68, v27
	v_add_co_ci_u32_e32 v37, vcc_lo, v74, v52, vcc_lo
	v_add_co_u32 v38, vcc_lo, v73, v57
	v_lshlrev_b64 v[53:54], 4, v[53:54]
	v_add_co_ci_u32_e32 v39, vcc_lo, v74, v58, vcc_lo
	v_add_co_u32 v51, vcc_lo, v73, v59
	v_lshlrev_b64 v[55:56], 4, v[67:68]
	v_add_co_ci_u32_e32 v52, vcc_lo, v74, v60, vcc_lo
	v_fma_f64 v[26:27], v[42:43], 2.0, -v[6:7]
	v_fma_f64 v[34:35], v[40:41], 2.0, -v[10:11]
	;; [unrolled: 1-line block ×8, first 2 shown]
	v_lshlrev_b64 v[57:58], 4, v[69:70]
	v_add_co_u32 v0, vcc_lo, v73, v53
	v_add_co_ci_u32_e32 v1, vcc_lo, v74, v54, vcc_lo
	v_lshlrev_b64 v[59:60], 4, v[71:72]
	v_add_co_u32 v2, vcc_lo, v73, v55
	v_add_co_ci_u32_e32 v3, vcc_lo, v74, v56, vcc_lo
	v_add_co_u32 v40, vcc_lo, v73, v57
	v_add_co_ci_u32_e32 v41, vcc_lo, v74, v58, vcc_lo
	;; [unrolled: 2-line block ×3, first 2 shown]
	global_store_dwordx4 v[44:45], v[28:31], off
	global_store_dwordx4 v[38:39], v[16:19], off
	;; [unrolled: 1-line block ×8, first 2 shown]
.LBB0_37:
	s_endpgm
	.section	.rodata,"a",@progbits
	.p2align	6, 0x0
	.amdhsa_kernel fft_rtc_fwd_len1848_factors_3_11_7_4_2_wgs_231_tpt_231_halfLds_dp_ip_CI_sbrr_dirReg
		.amdhsa_group_segment_fixed_size 0
		.amdhsa_private_segment_fixed_size 0
		.amdhsa_kernarg_size 88
		.amdhsa_user_sgpr_count 6
		.amdhsa_user_sgpr_private_segment_buffer 1
		.amdhsa_user_sgpr_dispatch_ptr 0
		.amdhsa_user_sgpr_queue_ptr 0
		.amdhsa_user_sgpr_kernarg_segment_ptr 1
		.amdhsa_user_sgpr_dispatch_id 0
		.amdhsa_user_sgpr_flat_scratch_init 0
		.amdhsa_user_sgpr_private_segment_size 0
		.amdhsa_wavefront_size32 1
		.amdhsa_uses_dynamic_stack 0
		.amdhsa_system_sgpr_private_segment_wavefront_offset 0
		.amdhsa_system_sgpr_workgroup_id_x 1
		.amdhsa_system_sgpr_workgroup_id_y 0
		.amdhsa_system_sgpr_workgroup_id_z 0
		.amdhsa_system_sgpr_workgroup_info 0
		.amdhsa_system_vgpr_workitem_id 0
		.amdhsa_next_free_vgpr 144
		.amdhsa_next_free_sgpr 30
		.amdhsa_reserve_vcc 1
		.amdhsa_reserve_flat_scratch 0
		.amdhsa_float_round_mode_32 0
		.amdhsa_float_round_mode_16_64 0
		.amdhsa_float_denorm_mode_32 3
		.amdhsa_float_denorm_mode_16_64 3
		.amdhsa_dx10_clamp 1
		.amdhsa_ieee_mode 1
		.amdhsa_fp16_overflow 0
		.amdhsa_workgroup_processor_mode 1
		.amdhsa_memory_ordered 1
		.amdhsa_forward_progress 0
		.amdhsa_shared_vgpr_count 0
		.amdhsa_exception_fp_ieee_invalid_op 0
		.amdhsa_exception_fp_denorm_src 0
		.amdhsa_exception_fp_ieee_div_zero 0
		.amdhsa_exception_fp_ieee_overflow 0
		.amdhsa_exception_fp_ieee_underflow 0
		.amdhsa_exception_fp_ieee_inexact 0
		.amdhsa_exception_int_div_zero 0
	.end_amdhsa_kernel
	.text
.Lfunc_end0:
	.size	fft_rtc_fwd_len1848_factors_3_11_7_4_2_wgs_231_tpt_231_halfLds_dp_ip_CI_sbrr_dirReg, .Lfunc_end0-fft_rtc_fwd_len1848_factors_3_11_7_4_2_wgs_231_tpt_231_halfLds_dp_ip_CI_sbrr_dirReg
                                        ; -- End function
	.section	.AMDGPU.csdata,"",@progbits
; Kernel info:
; codeLenInByte = 10916
; NumSgprs: 32
; NumVgprs: 144
; ScratchSize: 0
; MemoryBound: 1
; FloatMode: 240
; IeeeMode: 1
; LDSByteSize: 0 bytes/workgroup (compile time only)
; SGPRBlocks: 3
; VGPRBlocks: 17
; NumSGPRsForWavesPerEU: 32
; NumVGPRsForWavesPerEU: 144
; Occupancy: 7
; WaveLimiterHint : 1
; COMPUTE_PGM_RSRC2:SCRATCH_EN: 0
; COMPUTE_PGM_RSRC2:USER_SGPR: 6
; COMPUTE_PGM_RSRC2:TRAP_HANDLER: 0
; COMPUTE_PGM_RSRC2:TGID_X_EN: 1
; COMPUTE_PGM_RSRC2:TGID_Y_EN: 0
; COMPUTE_PGM_RSRC2:TGID_Z_EN: 0
; COMPUTE_PGM_RSRC2:TIDIG_COMP_CNT: 0
	.text
	.p2alignl 6, 3214868480
	.fill 48, 4, 3214868480
	.type	__hip_cuid_9e1b5b59454c46e7,@object ; @__hip_cuid_9e1b5b59454c46e7
	.section	.bss,"aw",@nobits
	.globl	__hip_cuid_9e1b5b59454c46e7
__hip_cuid_9e1b5b59454c46e7:
	.byte	0                               ; 0x0
	.size	__hip_cuid_9e1b5b59454c46e7, 1

	.ident	"AMD clang version 19.0.0git (https://github.com/RadeonOpenCompute/llvm-project roc-6.4.0 25133 c7fe45cf4b819c5991fe208aaa96edf142730f1d)"
	.section	".note.GNU-stack","",@progbits
	.addrsig
	.addrsig_sym __hip_cuid_9e1b5b59454c46e7
	.amdgpu_metadata
---
amdhsa.kernels:
  - .args:
      - .actual_access:  read_only
        .address_space:  global
        .offset:         0
        .size:           8
        .value_kind:     global_buffer
      - .offset:         8
        .size:           8
        .value_kind:     by_value
      - .actual_access:  read_only
        .address_space:  global
        .offset:         16
        .size:           8
        .value_kind:     global_buffer
      - .actual_access:  read_only
        .address_space:  global
        .offset:         24
        .size:           8
        .value_kind:     global_buffer
      - .offset:         32
        .size:           8
        .value_kind:     by_value
      - .actual_access:  read_only
        .address_space:  global
        .offset:         40
        .size:           8
        .value_kind:     global_buffer
      - .actual_access:  read_only
        .address_space:  global
        .offset:         48
        .size:           8
        .value_kind:     global_buffer
      - .offset:         56
        .size:           4
        .value_kind:     by_value
      - .actual_access:  read_only
        .address_space:  global
        .offset:         64
        .size:           8
        .value_kind:     global_buffer
      - .actual_access:  read_only
        .address_space:  global
        .offset:         72
        .size:           8
        .value_kind:     global_buffer
      - .address_space:  global
        .offset:         80
        .size:           8
        .value_kind:     global_buffer
    .group_segment_fixed_size: 0
    .kernarg_segment_align: 8
    .kernarg_segment_size: 88
    .language:       OpenCL C
    .language_version:
      - 2
      - 0
    .max_flat_workgroup_size: 231
    .name:           fft_rtc_fwd_len1848_factors_3_11_7_4_2_wgs_231_tpt_231_halfLds_dp_ip_CI_sbrr_dirReg
    .private_segment_fixed_size: 0
    .sgpr_count:     32
    .sgpr_spill_count: 0
    .symbol:         fft_rtc_fwd_len1848_factors_3_11_7_4_2_wgs_231_tpt_231_halfLds_dp_ip_CI_sbrr_dirReg.kd
    .uniform_work_group_size: 1
    .uses_dynamic_stack: false
    .vgpr_count:     144
    .vgpr_spill_count: 0
    .wavefront_size: 32
    .workgroup_processor_mode: 1
amdhsa.target:   amdgcn-amd-amdhsa--gfx1030
amdhsa.version:
  - 1
  - 2
...

	.end_amdgpu_metadata
